;; amdgpu-corpus repo=zjin-lcf/HeCBench kind=compiled arch=gfx1250 opt=O3
	.amdgcn_target "amdgcn-amd-amdhsa--gfx1250"
	.amdhsa_code_object_version 6
	.text
	.protected	_Z13dev_lapl_iterPfPKfffii ; -- Begin function _Z13dev_lapl_iterPfPKfffii
	.globl	_Z13dev_lapl_iterPfPKfffii
	.p2align	8
	.type	_Z13dev_lapl_iterPfPKfffii,@function
_Z13dev_lapl_iterPfPKfffii:             ; @_Z13dev_lapl_iterPfPKfffii
; %bb.0:
	s_clause 0x1
	s_load_b32 s2, s[0:1], 0x2c
	s_load_b256 s[4:11], s[0:1], 0x0
	s_wait_xcnt 0x0
	s_bfe_u32 s0, ttmp6, 0x4000c
	s_and_b32 s1, ttmp6, 15
	s_add_co_i32 s0, s0, 1
	s_getreg_b32 s3, hwreg(HW_REG_IB_STS2, 6, 4)
	s_mul_i32 s0, ttmp9, s0
	s_delay_alu instid0(SALU_CYCLE_1)
	s_add_co_i32 s1, s1, s0
	s_wait_kmcnt 0x0
	s_and_b32 s0, s2, 0xffff
	s_cmp_eq_u32 s3, 0
	s_cselect_b32 s1, ttmp9, s1
	s_abs_i32 s2, s10
	v_mad_u32 v4, s1, s0, v0
	s_cvt_f32_u32 s3, s2
	s_sub_co_i32 s1, 0, s2
	s_delay_alu instid0(SALU_CYCLE_2) | instskip(NEXT) | instid1(VALU_DEP_1)
	v_rcp_iflag_f32_e32 v1, s3
	v_sub_nc_u32_e32 v0, 0, v4
	s_delay_alu instid0(TRANS32_DEP_1) | instskip(NEXT) | instid1(VALU_DEP_2)
	v_readfirstlane_b32 s0, v1
	v_max_i32_e32 v0, v4, v0
	s_mul_f32 s0, s0, 0x4f7ffffe
	s_delay_alu instid0(SALU_CYCLE_3) | instskip(NEXT) | instid1(SALU_CYCLE_3)
	s_cvt_u32_f32 s0, s0
	s_mul_i32 s1, s1, s0
	s_delay_alu instid0(SALU_CYCLE_1) | instskip(NEXT) | instid1(SALU_CYCLE_1)
	s_mul_hi_u32 s1, s0, s1
	s_add_co_i32 s0, s0, s1
	s_abs_i32 s1, s11
	v_mul_hi_u32 v1, v0, s0
	s_cvt_f32_u32 s3, s1
	s_sub_co_i32 s12, 0, s1
	s_delay_alu instid0(VALU_DEP_1) | instskip(NEXT) | instid1(VALU_DEP_1)
	v_mul_lo_u32 v2, v1, s2
	v_dual_sub_nc_u32 v0, v0, v2 :: v_dual_add_nc_u32 v2, 1, v1
	s_delay_alu instid0(VALU_DEP_1) | instskip(NEXT) | instid1(VALU_DEP_2)
	v_cmp_le_u32_e32 vcc_lo, s2, v0
	v_dual_cndmask_b32 v1, v1, v2, vcc_lo :: v_dual_bitop2_b32 v2, s10, v4 bitop3:0x14
	v_subrev_nc_u32_e32 v3, s2, v0
	s_delay_alu instid0(VALU_DEP_1) | instskip(NEXT) | instid1(VALU_DEP_1)
	v_dual_cndmask_b32 v0, v0, v3 :: v_dual_add_nc_u32 v3, 1, v1
	v_cmp_le_u32_e32 vcc_lo, s2, v0
	s_delay_alu instid0(VALU_DEP_2) | instskip(SKIP_1) | instid1(VALU_DEP_1)
	v_dual_ashrrev_i32 v2, 31, v2 :: v_dual_cndmask_b32 v0, v1, v3, vcc_lo
	v_rcp_iflag_f32_e32 v1, s3
	v_xor_b32_e32 v0, v0, v2
	s_delay_alu instid0(TRANS32_DEP_1) | instskip(NEXT) | instid1(VALU_DEP_2)
	v_readfirstlane_b32 s3, v1
	v_sub_nc_u32_e32 v0, v0, v2
	s_mul_f32 s3, s3, 0x4f7ffffe
	s_delay_alu instid0(VALU_DEP_1) | instskip(NEXT) | instid1(SALU_CYCLE_2)
	v_mul_lo_u32 v1, v0, s10
	s_cvt_u32_f32 s3, s3
	s_delay_alu instid0(SALU_CYCLE_3) | instskip(NEXT) | instid1(VALU_DEP_1)
	s_mul_i32 s12, s12, s3
	v_sub_nc_u32_e32 v3, v4, v1
	s_delay_alu instid0(VALU_DEP_1) | instskip(SKIP_2) | instid1(VALU_DEP_2)
	v_dual_add_nc_u32 v6, 1, v3 :: v_dual_add_nc_u32 v2, 1, v0
	v_add3_u32 v0, s11, -1, v0
	s_mul_hi_u32 s11, s3, s12
	v_sub_nc_u32_e32 v9, 0, v6
	v_add3_u32 v7, s10, -1, v3
	s_delay_alu instid0(VALU_DEP_3) | instskip(SKIP_1) | instid1(VALU_DEP_2)
	v_dual_sub_nc_u32 v8, 0, v0 :: v_dual_sub_nc_u32 v5, 0, v2
	s_add_co_i32 s3, s3, s11
	v_dual_sub_nc_u32 v10, 0, v7 :: v_dual_max_i32 v9, v6, v9
	s_delay_alu instid0(VALU_DEP_2) | instskip(SKIP_1) | instid1(VALU_DEP_3)
	v_dual_ashrrev_i32 v6, 31, v6 :: v_dual_max_i32 v5, v2, v5
	v_ashrrev_i32_e32 v2, 31, v2
	v_mul_hi_u32 v13, v9, s0
	s_delay_alu instid0(VALU_DEP_4) | instskip(NEXT) | instid1(VALU_DEP_4)
	v_max_i32_e32 v10, v7, v10
	v_mul_hi_u32 v11, v5, s3
	s_delay_alu instid0(VALU_DEP_3) | instskip(NEXT) | instid1(VALU_DEP_2)
	v_mul_lo_u32 v13, v13, s2
	v_mul_lo_u32 v11, v11, s1
	v_max_i32_e32 v8, v0, v8
	v_ashrrev_i32_e32 v0, 31, v0
	v_mul_hi_u32 v14, v10, s0
	s_delay_alu instid0(VALU_DEP_4) | instskip(NEXT) | instid1(VALU_DEP_4)
	v_sub_nc_u32_e32 v5, v5, v11
	v_mul_hi_u32 v12, v8, s3
	s_delay_alu instid0(VALU_DEP_3) | instskip(SKIP_1) | instid1(VALU_DEP_4)
	v_mul_lo_u32 v14, v14, s2
	v_sub_nc_u32_e32 v9, v9, v13
	v_subrev_nc_u32_e32 v11, s1, v5
	v_cmp_le_u32_e32 vcc_lo, s1, v5
	v_mul_lo_u32 v12, v12, s1
	v_sub_nc_u32_e32 v10, v10, v14
	s_delay_alu instid0(VALU_DEP_1) | instskip(NEXT) | instid1(VALU_DEP_3)
	v_subrev_nc_u32_e32 v13, s2, v10
	v_sub_nc_u32_e32 v8, v8, v12
	s_delay_alu instid0(VALU_DEP_1) | instskip(SKIP_3) | instid1(VALU_DEP_4)
	v_subrev_nc_u32_e32 v12, s1, v8
	v_cndmask_b32_e32 v5, v5, v11, vcc_lo
	v_cmp_le_u32_e32 vcc_lo, s1, v8
	v_subrev_nc_u32_e32 v11, s2, v9
	v_cndmask_b32_e32 v8, v8, v12, vcc_lo
	v_cmp_le_u32_e32 vcc_lo, s2, v9
	s_delay_alu instid0(VALU_DEP_2) | instskip(NEXT) | instid1(VALU_DEP_4)
	v_subrev_nc_u32_e32 v12, s1, v8
	v_cndmask_b32_e32 v9, v9, v11, vcc_lo
	v_cmp_le_u32_e32 vcc_lo, s2, v10
	v_subrev_nc_u32_e32 v11, s1, v5
	v_cndmask_b32_e32 v10, v10, v13, vcc_lo
	v_cmp_le_u32_e32 vcc_lo, s1, v5
	v_subrev_nc_u32_e32 v13, s2, v9
	s_delay_alu instid0(VALU_DEP_3) | instskip(SKIP_2) | instid1(VALU_DEP_4)
	v_subrev_nc_u32_e32 v14, s2, v10
	v_cndmask_b32_e32 v5, v5, v11, vcc_lo
	v_cmp_le_u32_e32 vcc_lo, s2, v9
	v_dual_ashrrev_i32 v7, 31, v7 :: v_dual_cndmask_b32 v9, v9, v13, vcc_lo
	v_cmp_le_u32_e32 vcc_lo, s2, v10
	v_cndmask_b32_e32 v10, v10, v14, vcc_lo
	v_cmp_le_u32_e32 vcc_lo, s1, v8
	v_xor_b32_e32 v5, v5, v2
	s_delay_alu instid0(VALU_DEP_3) | instskip(NEXT) | instid1(VALU_DEP_2)
	v_dual_cndmask_b32 v8, v8, v12, vcc_lo :: v_dual_bitop2_b32 v10, v10, v7 bitop3:0x14
	v_sub_nc_u32_e32 v2, v5, v2
	v_xor_b32_e32 v9, v9, v6
	s_delay_alu instid0(VALU_DEP_3) | instskip(NEXT) | instid1(VALU_DEP_3)
	v_xor_b32_e32 v8, v8, v0
	v_mad_u32 v2, v2, s10, v3
	s_delay_alu instid0(VALU_DEP_3) | instskip(NEXT) | instid1(VALU_DEP_1)
	v_dual_sub_nc_u32 v5, v9, v6 :: v_dual_sub_nc_u32 v6, v10, v7
	v_dual_sub_nc_u32 v0, v8, v0 :: v_dual_add_nc_u32 v5, v1, v5
	s_delay_alu instid0(VALU_DEP_2) | instskip(NEXT) | instid1(VALU_DEP_2)
	v_add_nc_u32_e32 v1, v6, v1
	v_mad_u32 v3, v0, s10, v3
	s_clause 0x4
	global_load_b32 v6, v5, s[6:7] scale_offset
	global_load_b32 v7, v1, s[6:7] scale_offset
	;; [unrolled: 1-line block ×5, first 2 shown]
	s_wait_xcnt 0x1
	v_mov_b64_e32 v[2:3], s[8:9]
	s_wait_loadcnt 0x3
	v_add_f32_e32 v1, v6, v7
	s_wait_loadcnt 0x2
	s_delay_alu instid0(VALU_DEP_1) | instskip(SKIP_1) | instid1(VALU_DEP_1)
	v_add_f32_e32 v1, v1, v8
	s_wait_loadcnt 0x1
	v_add_f32_e32 v1, v1, v9
	s_wait_loadcnt 0x0
	s_delay_alu instid0(VALU_DEP_1) | instskip(NEXT) | instid1(VALU_DEP_1)
	v_pk_mul_f32 v[0:1], v[2:3], v[0:1] op_sel:[1,0] op_sel_hi:[0,1]
	v_add_f32_e32 v0, v0, v1
	global_store_b32 v4, v0, s[4:5] scale_offset
	s_endpgm
	.section	.rodata,"a",@progbits
	.p2align	6, 0x0
	.amdhsa_kernel _Z13dev_lapl_iterPfPKfffii
		.amdhsa_group_segment_fixed_size 0
		.amdhsa_private_segment_fixed_size 0
		.amdhsa_kernarg_size 288
		.amdhsa_user_sgpr_count 2
		.amdhsa_user_sgpr_dispatch_ptr 0
		.amdhsa_user_sgpr_queue_ptr 0
		.amdhsa_user_sgpr_kernarg_segment_ptr 1
		.amdhsa_user_sgpr_dispatch_id 0
		.amdhsa_user_sgpr_kernarg_preload_length 0
		.amdhsa_user_sgpr_kernarg_preload_offset 0
		.amdhsa_user_sgpr_private_segment_size 0
		.amdhsa_wavefront_size32 1
		.amdhsa_uses_dynamic_stack 0
		.amdhsa_enable_private_segment 0
		.amdhsa_system_sgpr_workgroup_id_x 1
		.amdhsa_system_sgpr_workgroup_id_y 0
		.amdhsa_system_sgpr_workgroup_id_z 0
		.amdhsa_system_sgpr_workgroup_info 0
		.amdhsa_system_vgpr_workitem_id 0
		.amdhsa_next_free_vgpr 15
		.amdhsa_next_free_sgpr 13
		.amdhsa_named_barrier_count 0
		.amdhsa_reserve_vcc 1
		.amdhsa_float_round_mode_32 0
		.amdhsa_float_round_mode_16_64 0
		.amdhsa_float_denorm_mode_32 3
		.amdhsa_float_denorm_mode_16_64 3
		.amdhsa_fp16_overflow 0
		.amdhsa_memory_ordered 1
		.amdhsa_forward_progress 1
		.amdhsa_inst_pref_size 7
		.amdhsa_round_robin_scheduling 0
		.amdhsa_exception_fp_ieee_invalid_op 0
		.amdhsa_exception_fp_denorm_src 0
		.amdhsa_exception_fp_ieee_div_zero 0
		.amdhsa_exception_fp_ieee_overflow 0
		.amdhsa_exception_fp_ieee_underflow 0
		.amdhsa_exception_fp_ieee_inexact 0
		.amdhsa_exception_int_div_zero 0
	.end_amdhsa_kernel
	.text
.Lfunc_end0:
	.size	_Z13dev_lapl_iterPfPKfffii, .Lfunc_end0-_Z13dev_lapl_iterPfPKfffii
                                        ; -- End function
	.set _Z13dev_lapl_iterPfPKfffii.num_vgpr, 15
	.set _Z13dev_lapl_iterPfPKfffii.num_agpr, 0
	.set _Z13dev_lapl_iterPfPKfffii.numbered_sgpr, 13
	.set _Z13dev_lapl_iterPfPKfffii.num_named_barrier, 0
	.set _Z13dev_lapl_iterPfPKfffii.private_seg_size, 0
	.set _Z13dev_lapl_iterPfPKfffii.uses_vcc, 1
	.set _Z13dev_lapl_iterPfPKfffii.uses_flat_scratch, 0
	.set _Z13dev_lapl_iterPfPKfffii.has_dyn_sized_stack, 0
	.set _Z13dev_lapl_iterPfPKfffii.has_recursion, 0
	.set _Z13dev_lapl_iterPfPKfffii.has_indirect_call, 0
	.section	.AMDGPU.csdata,"",@progbits
; Kernel info:
; codeLenInByte = 848
; TotalNumSgprs: 15
; NumVgprs: 15
; ScratchSize: 0
; MemoryBound: 0
; FloatMode: 240
; IeeeMode: 1
; LDSByteSize: 0 bytes/workgroup (compile time only)
; SGPRBlocks: 0
; VGPRBlocks: 0
; NumSGPRsForWavesPerEU: 15
; NumVGPRsForWavesPerEU: 15
; NamedBarCnt: 0
; Occupancy: 16
; WaveLimiterHint : 0
; COMPUTE_PGM_RSRC2:SCRATCH_EN: 0
; COMPUTE_PGM_RSRC2:USER_SGPR: 2
; COMPUTE_PGM_RSRC2:TRAP_HANDLER: 0
; COMPUTE_PGM_RSRC2:TGID_X_EN: 1
; COMPUTE_PGM_RSRC2:TGID_Y_EN: 0
; COMPUTE_PGM_RSRC2:TGID_Z_EN: 0
; COMPUTE_PGM_RSRC2:TIDIG_COMP_CNT: 0
	.text
	.p2alignl 7, 3214868480
	.fill 96, 4, 3214868480
	.section	.AMDGPU.gpr_maximums,"",@progbits
	.set amdgpu.max_num_vgpr, 0
	.set amdgpu.max_num_agpr, 0
	.set amdgpu.max_num_sgpr, 0
	.text
	.type	__hip_cuid_f2d4fb971b0ff90b,@object ; @__hip_cuid_f2d4fb971b0ff90b
	.section	.bss,"aw",@nobits
	.globl	__hip_cuid_f2d4fb971b0ff90b
__hip_cuid_f2d4fb971b0ff90b:
	.byte	0                               ; 0x0
	.size	__hip_cuid_f2d4fb971b0ff90b, 1

	.ident	"AMD clang version 22.0.0git (https://github.com/RadeonOpenCompute/llvm-project roc-7.2.4 26084 f58b06dce1f9c15707c5f808fd002e18c2accf7e)"
	.section	".note.GNU-stack","",@progbits
	.addrsig
	.addrsig_sym __hip_cuid_f2d4fb971b0ff90b
	.amdgpu_metadata
---
amdhsa.kernels:
  - .args:
      - .address_space:  global
        .offset:         0
        .size:           8
        .value_kind:     global_buffer
      - .address_space:  global
        .offset:         8
        .size:           8
        .value_kind:     global_buffer
      - .offset:         16
        .size:           4
        .value_kind:     by_value
      - .offset:         20
        .size:           4
        .value_kind:     by_value
      - .offset:         24
        .size:           4
        .value_kind:     by_value
      - .offset:         28
        .size:           4
        .value_kind:     by_value
      - .offset:         32
        .size:           4
        .value_kind:     hidden_block_count_x
      - .offset:         36
        .size:           4
        .value_kind:     hidden_block_count_y
      - .offset:         40
        .size:           4
        .value_kind:     hidden_block_count_z
      - .offset:         44
        .size:           2
        .value_kind:     hidden_group_size_x
      - .offset:         46
        .size:           2
        .value_kind:     hidden_group_size_y
      - .offset:         48
        .size:           2
        .value_kind:     hidden_group_size_z
      - .offset:         50
        .size:           2
        .value_kind:     hidden_remainder_x
      - .offset:         52
        .size:           2
        .value_kind:     hidden_remainder_y
      - .offset:         54
        .size:           2
        .value_kind:     hidden_remainder_z
      - .offset:         72
        .size:           8
        .value_kind:     hidden_global_offset_x
      - .offset:         80
        .size:           8
        .value_kind:     hidden_global_offset_y
      - .offset:         88
        .size:           8
        .value_kind:     hidden_global_offset_z
      - .offset:         96
        .size:           2
        .value_kind:     hidden_grid_dims
    .group_segment_fixed_size: 0
    .kernarg_segment_align: 8
    .kernarg_segment_size: 288
    .language:       OpenCL C
    .language_version:
      - 2
      - 0
    .max_flat_workgroup_size: 1024
    .name:           _Z13dev_lapl_iterPfPKfffii
    .private_segment_fixed_size: 0
    .sgpr_count:     15
    .sgpr_spill_count: 0
    .symbol:         _Z13dev_lapl_iterPfPKfffii.kd
    .uniform_work_group_size: 1
    .uses_dynamic_stack: false
    .vgpr_count:     15
    .vgpr_spill_count: 0
    .wavefront_size: 32
amdhsa.target:   amdgcn-amd-amdhsa--gfx1250
amdhsa.version:
  - 1
  - 2
...

	.end_amdgpu_metadata
